;; amdgpu-corpus repo=ROCm/rocFFT kind=compiled arch=gfx1030 opt=O3
	.text
	.amdgcn_target "amdgcn-amd-amdhsa--gfx1030"
	.amdhsa_code_object_version 6
	.protected	fft_rtc_back_len880_factors_2_2_2_2_11_5_wgs_176_tpt_88_halfLds_dp_ip_CI_unitstride_sbrr_dirReg ; -- Begin function fft_rtc_back_len880_factors_2_2_2_2_11_5_wgs_176_tpt_88_halfLds_dp_ip_CI_unitstride_sbrr_dirReg
	.globl	fft_rtc_back_len880_factors_2_2_2_2_11_5_wgs_176_tpt_88_halfLds_dp_ip_CI_unitstride_sbrr_dirReg
	.p2align	8
	.type	fft_rtc_back_len880_factors_2_2_2_2_11_5_wgs_176_tpt_88_halfLds_dp_ip_CI_unitstride_sbrr_dirReg,@function
fft_rtc_back_len880_factors_2_2_2_2_11_5_wgs_176_tpt_88_halfLds_dp_ip_CI_unitstride_sbrr_dirReg: ; @fft_rtc_back_len880_factors_2_2_2_2_11_5_wgs_176_tpt_88_halfLds_dp_ip_CI_unitstride_sbrr_dirReg
; %bb.0:
	s_clause 0x2
	s_load_dwordx4 s[8:11], s[4:5], 0x0
	s_load_dwordx2 s[2:3], s[4:5], 0x50
	s_load_dwordx2 s[12:13], s[4:5], 0x18
	v_mul_u32_u24_e32 v1, 0x2e9, v0
	v_mov_b32_e32 v3, 0
	v_lshrrev_b32_e32 v40, 16, v1
	v_mov_b32_e32 v1, 0
	v_mov_b32_e32 v6, v3
	v_mov_b32_e32 v2, 0
	v_lshl_add_u32 v5, s6, 1, v40
	s_waitcnt lgkmcnt(0)
	v_cmp_lt_u64_e64 s0, s[10:11], 2
	s_and_b32 vcc_lo, exec_lo, s0
	s_cbranch_vccnz .LBB0_8
; %bb.1:
	s_load_dwordx2 s[0:1], s[4:5], 0x10
	v_mov_b32_e32 v1, 0
	s_add_u32 s6, s12, 8
	v_mov_b32_e32 v2, 0
	s_addc_u32 s7, s13, 0
	s_mov_b64 s[16:17], 1
	s_waitcnt lgkmcnt(0)
	s_add_u32 s14, s0, 8
	s_addc_u32 s15, s1, 0
.LBB0_2:                                ; =>This Inner Loop Header: Depth=1
	s_load_dwordx2 s[18:19], s[14:15], 0x0
                                        ; implicit-def: $vgpr7_vgpr8
	s_mov_b32 s0, exec_lo
	s_waitcnt lgkmcnt(0)
	v_or_b32_e32 v4, s19, v6
	v_cmpx_ne_u64_e32 0, v[3:4]
	s_xor_b32 s1, exec_lo, s0
	s_cbranch_execz .LBB0_4
; %bb.3:                                ;   in Loop: Header=BB0_2 Depth=1
	v_cvt_f32_u32_e32 v4, s18
	v_cvt_f32_u32_e32 v7, s19
	s_sub_u32 s0, 0, s18
	s_subb_u32 s20, 0, s19
	v_fmac_f32_e32 v4, 0x4f800000, v7
	v_rcp_f32_e32 v4, v4
	v_mul_f32_e32 v4, 0x5f7ffffc, v4
	v_mul_f32_e32 v7, 0x2f800000, v4
	v_trunc_f32_e32 v7, v7
	v_fmac_f32_e32 v4, 0xcf800000, v7
	v_cvt_u32_f32_e32 v7, v7
	v_cvt_u32_f32_e32 v4, v4
	v_mul_lo_u32 v8, s0, v7
	v_mul_hi_u32 v9, s0, v4
	v_mul_lo_u32 v10, s20, v4
	v_add_nc_u32_e32 v8, v9, v8
	v_mul_lo_u32 v9, s0, v4
	v_add_nc_u32_e32 v8, v8, v10
	v_mul_hi_u32 v10, v4, v9
	v_mul_lo_u32 v11, v4, v8
	v_mul_hi_u32 v12, v4, v8
	v_mul_hi_u32 v13, v7, v9
	v_mul_lo_u32 v9, v7, v9
	v_mul_hi_u32 v14, v7, v8
	v_mul_lo_u32 v8, v7, v8
	v_add_co_u32 v10, vcc_lo, v10, v11
	v_add_co_ci_u32_e32 v11, vcc_lo, 0, v12, vcc_lo
	v_add_co_u32 v9, vcc_lo, v10, v9
	v_add_co_ci_u32_e32 v9, vcc_lo, v11, v13, vcc_lo
	v_add_co_ci_u32_e32 v10, vcc_lo, 0, v14, vcc_lo
	v_add_co_u32 v8, vcc_lo, v9, v8
	v_add_co_ci_u32_e32 v9, vcc_lo, 0, v10, vcc_lo
	v_add_co_u32 v4, vcc_lo, v4, v8
	v_add_co_ci_u32_e32 v7, vcc_lo, v7, v9, vcc_lo
	v_mul_hi_u32 v8, s0, v4
	v_mul_lo_u32 v10, s20, v4
	v_mul_lo_u32 v9, s0, v7
	v_add_nc_u32_e32 v8, v8, v9
	v_mul_lo_u32 v9, s0, v4
	v_add_nc_u32_e32 v8, v8, v10
	v_mul_hi_u32 v10, v4, v9
	v_mul_lo_u32 v11, v4, v8
	v_mul_hi_u32 v12, v4, v8
	v_mul_hi_u32 v13, v7, v9
	v_mul_lo_u32 v9, v7, v9
	v_mul_hi_u32 v14, v7, v8
	v_mul_lo_u32 v8, v7, v8
	v_add_co_u32 v10, vcc_lo, v10, v11
	v_add_co_ci_u32_e32 v11, vcc_lo, 0, v12, vcc_lo
	v_add_co_u32 v9, vcc_lo, v10, v9
	v_add_co_ci_u32_e32 v9, vcc_lo, v11, v13, vcc_lo
	v_add_co_ci_u32_e32 v10, vcc_lo, 0, v14, vcc_lo
	v_add_co_u32 v8, vcc_lo, v9, v8
	v_add_co_ci_u32_e32 v9, vcc_lo, 0, v10, vcc_lo
	v_add_co_u32 v4, vcc_lo, v4, v8
	v_add_co_ci_u32_e32 v11, vcc_lo, v7, v9, vcc_lo
	v_mul_hi_u32 v13, v5, v4
	v_mad_u64_u32 v[9:10], null, v6, v4, 0
	v_mad_u64_u32 v[7:8], null, v5, v11, 0
	;; [unrolled: 1-line block ×3, first 2 shown]
	v_add_co_u32 v4, vcc_lo, v13, v7
	v_add_co_ci_u32_e32 v7, vcc_lo, 0, v8, vcc_lo
	v_add_co_u32 v4, vcc_lo, v4, v9
	v_add_co_ci_u32_e32 v4, vcc_lo, v7, v10, vcc_lo
	v_add_co_ci_u32_e32 v7, vcc_lo, 0, v12, vcc_lo
	v_add_co_u32 v4, vcc_lo, v4, v11
	v_add_co_ci_u32_e32 v9, vcc_lo, 0, v7, vcc_lo
	v_mul_lo_u32 v10, s19, v4
	v_mad_u64_u32 v[7:8], null, s18, v4, 0
	v_mul_lo_u32 v11, s18, v9
	v_sub_co_u32 v7, vcc_lo, v5, v7
	v_add3_u32 v8, v8, v11, v10
	v_sub_nc_u32_e32 v10, v6, v8
	v_subrev_co_ci_u32_e64 v10, s0, s19, v10, vcc_lo
	v_add_co_u32 v11, s0, v4, 2
	v_add_co_ci_u32_e64 v12, s0, 0, v9, s0
	v_sub_co_u32 v13, s0, v7, s18
	v_sub_co_ci_u32_e32 v8, vcc_lo, v6, v8, vcc_lo
	v_subrev_co_ci_u32_e64 v10, s0, 0, v10, s0
	v_cmp_le_u32_e32 vcc_lo, s18, v13
	v_cmp_eq_u32_e64 s0, s19, v8
	v_cndmask_b32_e64 v13, 0, -1, vcc_lo
	v_cmp_le_u32_e32 vcc_lo, s19, v10
	v_cndmask_b32_e64 v14, 0, -1, vcc_lo
	v_cmp_le_u32_e32 vcc_lo, s18, v7
	;; [unrolled: 2-line block ×3, first 2 shown]
	v_cndmask_b32_e64 v15, 0, -1, vcc_lo
	v_cmp_eq_u32_e32 vcc_lo, s19, v10
	v_cndmask_b32_e64 v7, v15, v7, s0
	v_cndmask_b32_e32 v10, v14, v13, vcc_lo
	v_add_co_u32 v13, vcc_lo, v4, 1
	v_add_co_ci_u32_e32 v14, vcc_lo, 0, v9, vcc_lo
	v_cmp_ne_u32_e32 vcc_lo, 0, v10
	v_cndmask_b32_e32 v8, v14, v12, vcc_lo
	v_cndmask_b32_e32 v10, v13, v11, vcc_lo
	v_cmp_ne_u32_e32 vcc_lo, 0, v7
	v_cndmask_b32_e32 v8, v9, v8, vcc_lo
	v_cndmask_b32_e32 v7, v4, v10, vcc_lo
.LBB0_4:                                ;   in Loop: Header=BB0_2 Depth=1
	s_andn2_saveexec_b32 s0, s1
	s_cbranch_execz .LBB0_6
; %bb.5:                                ;   in Loop: Header=BB0_2 Depth=1
	v_cvt_f32_u32_e32 v4, s18
	s_sub_i32 s1, 0, s18
	v_rcp_iflag_f32_e32 v4, v4
	v_mul_f32_e32 v4, 0x4f7ffffe, v4
	v_cvt_u32_f32_e32 v4, v4
	v_mul_lo_u32 v7, s1, v4
	v_mul_hi_u32 v7, v4, v7
	v_add_nc_u32_e32 v4, v4, v7
	v_mul_hi_u32 v4, v5, v4
	v_mul_lo_u32 v7, v4, s18
	v_add_nc_u32_e32 v8, 1, v4
	v_sub_nc_u32_e32 v7, v5, v7
	v_subrev_nc_u32_e32 v9, s18, v7
	v_cmp_le_u32_e32 vcc_lo, s18, v7
	v_cndmask_b32_e32 v7, v7, v9, vcc_lo
	v_cndmask_b32_e32 v4, v4, v8, vcc_lo
	v_cmp_le_u32_e32 vcc_lo, s18, v7
	v_add_nc_u32_e32 v8, 1, v4
	v_cndmask_b32_e32 v7, v4, v8, vcc_lo
	v_mov_b32_e32 v8, v3
.LBB0_6:                                ;   in Loop: Header=BB0_2 Depth=1
	s_or_b32 exec_lo, exec_lo, s0
	s_load_dwordx2 s[0:1], s[6:7], 0x0
	v_mul_lo_u32 v4, v8, s18
	v_mul_lo_u32 v11, v7, s19
	v_mad_u64_u32 v[9:10], null, v7, s18, 0
	s_add_u32 s16, s16, 1
	s_addc_u32 s17, s17, 0
	s_add_u32 s6, s6, 8
	s_addc_u32 s7, s7, 0
	;; [unrolled: 2-line block ×3, first 2 shown]
	v_add3_u32 v4, v10, v11, v4
	v_sub_co_u32 v5, vcc_lo, v5, v9
	v_sub_co_ci_u32_e32 v4, vcc_lo, v6, v4, vcc_lo
	s_waitcnt lgkmcnt(0)
	v_mul_lo_u32 v6, s1, v5
	v_mul_lo_u32 v4, s0, v4
	v_mad_u64_u32 v[1:2], null, s0, v5, v[1:2]
	v_cmp_ge_u64_e64 s0, s[16:17], s[10:11]
	s_and_b32 vcc_lo, exec_lo, s0
	v_add3_u32 v2, v6, v2, v4
	s_cbranch_vccnz .LBB0_9
; %bb.7:                                ;   in Loop: Header=BB0_2 Depth=1
	v_mov_b32_e32 v5, v7
	v_mov_b32_e32 v6, v8
	s_branch .LBB0_2
.LBB0_8:
	v_mov_b32_e32 v8, v6
	v_mov_b32_e32 v7, v5
.LBB0_9:
	s_lshl_b64 s[0:1], s[10:11], 3
	v_mul_hi_u32 v5, 0x2e8ba2f, v0
	s_add_u32 s0, s12, s0
	s_addc_u32 s1, s13, s1
                                        ; implicit-def: $vgpr30_vgpr31
                                        ; implicit-def: $vgpr10_vgpr11
                                        ; implicit-def: $vgpr34_vgpr35
                                        ; implicit-def: $vgpr14_vgpr15
                                        ; implicit-def: $vgpr38_vgpr39
                                        ; implicit-def: $vgpr18_vgpr19
                                        ; implicit-def: $vgpr22_vgpr23
                                        ; implicit-def: $vgpr26_vgpr27
	s_load_dwordx2 s[0:1], s[0:1], 0x0
	s_load_dwordx2 s[4:5], s[4:5], 0x20
	s_waitcnt lgkmcnt(0)
	v_mul_lo_u32 v3, s0, v8
	v_mul_lo_u32 v4, s1, v7
	v_mad_u64_u32 v[1:2], null, s0, v7, v[1:2]
	v_cmp_gt_u64_e32 vcc_lo, s[4:5], v[7:8]
                                        ; implicit-def: $vgpr6_vgpr7
	v_add3_u32 v2, v4, v2, v3
	v_mul_u32_u24_e32 v3, 0x58, v5
	v_lshlrev_b64 v[48:49], 4, v[1:2]
	v_sub_nc_u32_e32 v50, v0, v3
                                        ; implicit-def: $vgpr2_vgpr3
	s_and_saveexec_b32 s1, vcc_lo
	s_cbranch_execz .LBB0_11
; %bb.10:
	v_mov_b32_e32 v51, 0
	v_add_co_u32 v2, s0, s2, v48
	v_add_co_ci_u32_e64 v3, s0, s3, v49, s0
	v_lshlrev_b64 v[0:1], 4, v[50:51]
	v_add_co_u32 v8, s0, v2, v0
	v_add_co_ci_u32_e64 v9, s0, v3, v1, s0
	v_add_co_u32 v10, s0, 0x1800, v8
	v_add_co_ci_u32_e64 v11, s0, 0, v9, s0
	;; [unrolled: 2-line block ×3, first 2 shown]
	s_clause 0x3
	global_load_dwordx4 v[4:7], v[8:9], off
	global_load_dwordx4 v[0:3], v[8:9], off offset:1408
	global_load_dwordx4 v[24:27], v[10:11], off offset:896
	;; [unrolled: 1-line block ×3, first 2 shown]
	v_add_co_u32 v10, s0, 0x800, v8
	v_add_co_ci_u32_e64 v11, s0, 0, v9, s0
	v_add_co_u32 v28, s0, 0x1000, v8
	v_add_co_ci_u32_e64 v29, s0, 0, v9, s0
	;; [unrolled: 2-line block ×4, first 2 shown]
	s_clause 0x5
	global_load_dwordx4 v[16:19], v[10:11], off offset:768
	global_load_dwordx4 v[36:39], v[12:13], off offset:1664
	;; [unrolled: 1-line block ×6, first 2 shown]
.LBB0_11:
	s_or_b32 exec_lo, exec_lo, s1
	s_waitcnt vmcnt(6)
	v_add_f64 v[41:42], v[0:1], -v[20:21]
	v_and_b32_e32 v20, 1, v40
	v_add_f64 v[24:25], v[4:5], -v[24:25]
	v_add_f64 v[45:46], v[6:7], -v[26:27]
	;; [unrolled: 1-line block ×3, first 2 shown]
	s_waitcnt vmcnt(4)
	v_add_f64 v[36:37], v[16:17], -v[36:37]
	v_cmp_eq_u32_e64 s0, 1, v20
	v_add_f64 v[20:21], v[18:19], -v[38:39]
	s_waitcnt vmcnt(1)
	v_add_f64 v[32:33], v[12:13], -v[32:33]
	v_add_f64 v[57:58], v[14:15], -v[34:35]
	s_waitcnt vmcnt(0)
	v_add_f64 v[28:29], v[8:9], -v[28:29]
	v_add_f64 v[62:63], v[10:11], -v[30:31]
	v_cndmask_b32_e64 v70, 0, 0x370, s0
	v_add_nc_u32_e32 v67, 0x58, v50
	v_add_nc_u32_e32 v64, 0x108, v50
	v_add_nc_u32_e32 v65, 0x160, v50
	v_and_b32_e32 v71, 1, v50
	v_lshl_add_u32 v59, v70, 3, 0
	v_cmp_gt_u32_e64 s0, 0x50, v50
	v_lshl_add_u32 v47, v64, 4, v59
	v_fma_f64 v[39:40], v[0:1], 2.0, -v[41:42]
	v_fma_f64 v[22:23], v[4:5], 2.0, -v[24:25]
	;; [unrolled: 1-line block ×5, first 2 shown]
	v_lshlrev_b32_e32 v4, 3, v50
	v_fma_f64 v[18:19], v[18:19], 2.0, -v[20:21]
	v_fma_f64 v[30:31], v[12:13], 2.0, -v[32:33]
	;; [unrolled: 1-line block ×5, first 2 shown]
	v_lshl_add_u32 v16, v50, 4, v59
	v_add_nc_u32_e32 v1, 0xb0, v50
	v_lshl_add_u32 v17, v67, 4, v59
	v_lshl_add_u32 v66, v65, 4, v59
	v_add_nc_u32_e32 v69, v59, v4
	v_sub_nc_u32_e32 v68, v16, v4
	v_lshl_add_u32 v38, v1, 4, v59
	v_lshlrev_b32_e32 v72, 1, v1
	v_lshlrev_b32_e32 v64, 1, v64
	;; [unrolled: 1-line block ×3, first 2 shown]
	v_add_nc_u32_e32 v0, 0xc00, v68
	v_add_nc_u32_e32 v2, 0x1000, v68
	;; [unrolled: 1-line block ×3, first 2 shown]
	ds_write_b128 v16, v[22:25]
	ds_write_b128 v17, v[39:42]
	;; [unrolled: 1-line block ×5, first 2 shown]
	s_waitcnt lgkmcnt(0)
	s_barrier
	buffer_gl0_inv
	ds_read2_b64 v[4:7], v0 offset0:56 offset1:144
	ds_read2_b64 v[8:11], v68 offset0:88 offset1:176
	;; [unrolled: 1-line block ×4, first 2 shown]
	ds_read_b64 v[34:35], v69
	ds_read_b64 v[36:37], v68 offset:6336
	s_waitcnt lgkmcnt(0)
	s_barrier
	buffer_gl0_inv
	ds_write_b128 v16, v[43:46]
	ds_write_b128 v17, v[51:54]
	;; [unrolled: 1-line block ×4, first 2 shown]
	v_lshlrev_b32_e32 v16, 4, v71
	ds_write_b128 v66, v[60:63]
	s_waitcnt lgkmcnt(0)
	s_barrier
	buffer_gl0_inv
	global_load_dwordx4 v[16:19], v16, s[8:9]
	ds_read2_b64 v[26:29], v0 offset0:56 offset1:144
	ds_read2_b64 v[30:33], v2 offset0:104 offset1:192
	ds_read_b64 v[20:21], v68 offset:6336
	ds_read_b64 v[38:39], v69
	v_lshlrev_b32_e32 v66, 1, v67
	v_lshlrev_b32_e32 v62, 1, v50
	v_and_b32_e32 v63, 3, v50
	v_and_or_b32 v1, 0xfc, v62, v71
	v_lshl_add_u32 v1, v1, 3, v59
	s_waitcnt vmcnt(0) lgkmcnt(3)
	v_mul_f64 v[40:41], v[26:27], v[18:19]
	v_mul_f64 v[53:54], v[4:5], v[18:19]
	;; [unrolled: 1-line block ×4, first 2 shown]
	s_waitcnt lgkmcnt(2)
	v_mul_f64 v[44:45], v[30:31], v[18:19]
	v_mul_f64 v[57:58], v[12:13], v[18:19]
	;; [unrolled: 1-line block ×4, first 2 shown]
	s_waitcnt lgkmcnt(1)
	v_mul_f64 v[51:52], v[20:21], v[18:19]
	v_mul_f64 v[18:19], v[36:37], v[18:19]
	v_fma_f64 v[40:41], v[4:5], v[16:17], v[40:41]
	v_fma_f64 v[26:27], v[26:27], v[16:17], -v[53:54]
	v_fma_f64 v[42:43], v[6:7], v[16:17], v[42:43]
	v_fma_f64 v[28:29], v[28:29], v[16:17], -v[55:56]
	;; [unrolled: 2-line block ×4, first 2 shown]
	v_fma_f64 v[36:37], v[36:37], v[16:17], v[51:52]
	ds_read2_b64 v[4:7], v68 offset0:88 offset1:176
	ds_read2_b64 v[12:15], v3 offset0:8 offset1:96
	v_fma_f64 v[16:17], v[20:21], v[16:17], -v[18:19]
	v_lshlrev_b32_e32 v55, 4, v63
	s_waitcnt lgkmcnt(0)
	s_barrier
	buffer_gl0_inv
	v_add_f64 v[18:19], v[34:35], -v[40:41]
	v_add_f64 v[26:27], v[38:39], -v[26:27]
	;; [unrolled: 1-line block ×10, first 2 shown]
	v_and_or_b32 v46, 0x3fc, v64, v71
	v_and_or_b32 v47, 0x3fc, v65, v71
	v_lshl_add_u32 v58, v46, 3, v59
	v_lshl_add_u32 v60, v47, 3, v59
	v_fma_f64 v[16:17], v[34:35], 2.0, -v[18:19]
	v_and_or_b32 v34, 0x1fc, v66, v71
	v_and_or_b32 v35, 0x3fc, v72, v71
	v_fma_f64 v[8:9], v[8:9], 2.0, -v[20:21]
	v_fma_f64 v[10:11], v[10:11], 2.0, -v[40:41]
	v_lshl_add_u32 v56, v34, 3, v59
	v_lshl_add_u32 v57, v35, 3, v59
	v_fma_f64 v[34:35], v[38:39], 2.0, -v[26:27]
	v_fma_f64 v[38:39], v[4:5], 2.0, -v[28:29]
	;; [unrolled: 1-line block ×7, first 2 shown]
	ds_write2_b64 v1, v[16:17], v[18:19] offset1:2
	ds_write2_b64 v56, v[8:9], v[20:21] offset1:2
	;; [unrolled: 1-line block ×5, first 2 shown]
	s_waitcnt lgkmcnt(0)
	s_barrier
	buffer_gl0_inv
	ds_read2_b64 v[4:7], v0 offset0:56 offset1:144
	ds_read2_b64 v[8:11], v68 offset0:88 offset1:176
	;; [unrolled: 1-line block ×4, first 2 shown]
	ds_read_b64 v[36:37], v69
	ds_read_b64 v[40:41], v68 offset:6336
	s_waitcnt lgkmcnt(0)
	s_barrier
	buffer_gl0_inv
	ds_write2_b64 v1, v[34:35], v[26:27] offset1:2
	ds_write2_b64 v56, v[38:39], v[28:29] offset1:2
	;; [unrolled: 1-line block ×5, first 2 shown]
	s_waitcnt lgkmcnt(0)
	s_barrier
	buffer_gl0_inv
	global_load_dwordx4 v[20:23], v55, s[8:9] offset:32
	ds_read2_b64 v[24:27], v0 offset0:56 offset1:144
	ds_read2_b64 v[28:31], v2 offset0:104 offset1:192
	ds_read_b64 v[32:33], v68 offset:6336
	ds_read_b64 v[34:35], v69
	v_and_or_b32 v1, 0xf8, v62, v63
	v_lshl_add_u32 v1, v1, 3, v59
	s_waitcnt vmcnt(0) lgkmcnt(3)
	v_mul_f64 v[38:39], v[24:25], v[22:23]
	v_mul_f64 v[53:54], v[4:5], v[22:23]
	;; [unrolled: 1-line block ×4, first 2 shown]
	s_waitcnt lgkmcnt(2)
	v_mul_f64 v[44:45], v[28:29], v[22:23]
	v_mul_f64 v[57:58], v[12:13], v[22:23]
	;; [unrolled: 1-line block ×4, first 2 shown]
	s_waitcnt lgkmcnt(1)
	v_mul_f64 v[51:52], v[32:33], v[22:23]
	v_mul_f64 v[22:23], v[40:41], v[22:23]
	v_fma_f64 v[38:39], v[4:5], v[20:21], v[38:39]
	v_fma_f64 v[24:25], v[24:25], v[20:21], -v[53:54]
	v_fma_f64 v[42:43], v[6:7], v[20:21], v[42:43]
	v_fma_f64 v[26:27], v[26:27], v[20:21], -v[55:56]
	v_fma_f64 v[44:45], v[12:13], v[20:21], v[44:45]
	v_fma_f64 v[28:29], v[28:29], v[20:21], -v[57:58]
	v_fma_f64 v[46:47], v[14:15], v[20:21], v[46:47]
	v_fma_f64 v[30:31], v[30:31], v[20:21], -v[60:61]
	v_fma_f64 v[40:41], v[40:41], v[20:21], v[51:52]
	ds_read2_b64 v[4:7], v68 offset0:88 offset1:176
	ds_read2_b64 v[12:15], v3 offset0:8 offset1:96
	v_fma_f64 v[20:21], v[32:33], v[20:21], -v[22:23]
	v_and_b32_e32 v60, 7, v50
	s_waitcnt lgkmcnt(0)
	s_barrier
	buffer_gl0_inv
	v_lshlrev_b32_e32 v61, 4, v60
	v_add_f64 v[22:23], v[36:37], -v[38:39]
	v_add_f64 v[53:54], v[34:35], -v[24:25]
	;; [unrolled: 1-line block ×3, first 2 shown]
	v_and_or_b32 v24, 0x1f8, v66, v63
	v_add_f64 v[38:39], v[10:11], -v[44:45]
	v_and_or_b32 v25, 0x3f8, v72, v63
	v_add_f64 v[55:56], v[4:5], -v[26:27]
	v_add_f64 v[28:29], v[6:7], -v[28:29]
	;; [unrolled: 1-line block ×6, first 2 shown]
	v_and_or_b32 v26, 0x3f8, v64, v63
	v_and_or_b32 v27, 0x3f8, v65, v63
	;; [unrolled: 1-line block ×4, first 2 shown]
	v_lshl_add_u32 v63, v26, 3, v59
	v_lshl_add_u32 v71, v27, 3, v59
	v_fma_f64 v[20:21], v[36:37], 2.0, -v[22:23]
	v_fma_f64 v[34:35], v[34:35], 2.0, -v[53:54]
	;; [unrolled: 1-line block ×3, first 2 shown]
	v_lshl_add_u32 v36, v24, 3, v59
	v_fma_f64 v[10:11], v[10:11], 2.0, -v[38:39]
	v_lshl_add_u32 v37, v25, 3, v59
	v_fma_f64 v[4:5], v[4:5], 2.0, -v[55:56]
	v_fma_f64 v[6:7], v[6:7], 2.0, -v[28:29]
	;; [unrolled: 1-line block ×6, first 2 shown]
	ds_write2_b64 v1, v[20:21], v[22:23] offset1:4
	ds_write2_b64 v36, v[8:9], v[32:33] offset1:4
	;; [unrolled: 1-line block ×5, first 2 shown]
	s_waitcnt lgkmcnt(0)
	s_barrier
	buffer_gl0_inv
	ds_read2_b64 v[24:27], v0 offset0:56 offset1:144
	ds_read2_b64 v[40:43], v68 offset0:88 offset1:176
	;; [unrolled: 1-line block ×4, first 2 shown]
	ds_read_b64 v[10:11], v69
	ds_read_b64 v[51:52], v68 offset:6336
	s_waitcnt lgkmcnt(0)
	s_barrier
	buffer_gl0_inv
	ds_write2_b64 v1, v[34:35], v[53:54] offset1:4
	ds_write2_b64 v36, v[4:5], v[55:56] offset1:4
	;; [unrolled: 1-line block ×5, first 2 shown]
	s_waitcnt lgkmcnt(0)
	s_barrier
	buffer_gl0_inv
	global_load_dwordx4 v[28:31], v61, s[8:9] offset:96
	ds_read2_b64 v[36:39], v0 offset0:56 offset1:144
	ds_read2_b64 v[32:35], v2 offset0:104 offset1:192
	ds_read_b64 v[55:56], v68 offset:6336
	ds_read_b64 v[57:58], v69
	v_and_or_b32 v61, 0xf0, v62, v60
	v_and_or_b32 v62, 0x1f0, v66, v60
	;; [unrolled: 1-line block ×3, first 2 shown]
	v_lshl_add_u32 v60, v61, 3, v59
	v_lshl_add_u32 v61, v62, 3, v59
	;; [unrolled: 1-line block ×5, first 2 shown]
	s_waitcnt vmcnt(0) lgkmcnt(3)
	v_mul_f64 v[0:1], v[36:37], v[30:31]
	v_mul_f64 v[4:5], v[38:39], v[30:31]
	s_waitcnt lgkmcnt(2)
	v_mul_f64 v[6:7], v[32:33], v[30:31]
	v_mul_f64 v[8:9], v[34:35], v[30:31]
	s_waitcnt lgkmcnt(1)
	v_mul_f64 v[12:13], v[55:56], v[30:31]
	v_fma_f64 v[0:1], v[24:25], v[28:29], v[0:1]
	v_fma_f64 v[4:5], v[26:27], v[28:29], v[4:5]
	;; [unrolled: 1-line block ×5, first 2 shown]
	v_add_f64 v[16:17], v[10:11], -v[0:1]
	v_add_f64 v[12:13], v[40:41], -v[4:5]
	;; [unrolled: 1-line block ×5, first 2 shown]
	v_fma_f64 v[53:54], v[10:11], 2.0, -v[16:17]
	v_fma_f64 v[18:19], v[40:41], 2.0, -v[12:13]
	;; [unrolled: 1-line block ×5, first 2 shown]
	ds_read2_b64 v[44:47], v68 offset0:88 offset1:176
	ds_read2_b64 v[40:43], v3 offset0:8 offset1:96
	s_waitcnt lgkmcnt(0)
	s_barrier
	buffer_gl0_inv
	ds_write2_b64 v60, v[53:54], v[16:17] offset1:8
	ds_write2_b64 v61, v[18:19], v[12:13] offset1:8
	;; [unrolled: 1-line block ×5, first 2 shown]
	s_waitcnt lgkmcnt(0)
	s_barrier
	buffer_gl0_inv
	s_and_saveexec_b32 s1, s0
	s_cbranch_execz .LBB0_13
; %bb.12:
	v_add_nc_u32_e32 v0, 0x400, v68
	v_add_nc_u32_e32 v1, 0x1400, v68
	ds_read_b64 v[53:54], v69
	ds_read2_b64 v[16:19], v68 offset0:80 offset1:160
	ds_read2_b64 v[8:11], v3 offset0:144 offset1:224
	;; [unrolled: 1-line block ×5, first 2 shown]
.LBB0_13:
	s_or_b32 exec_lo, exec_lo, s1
	v_mul_f64 v[24:25], v[24:25], v[30:31]
	v_mul_f64 v[26:27], v[26:27], v[30:31]
	;; [unrolled: 1-line block ×5, first 2 shown]
	s_waitcnt lgkmcnt(0)
	s_barrier
	buffer_gl0_inv
	v_fma_f64 v[24:25], v[36:37], v[28:29], -v[24:25]
	v_fma_f64 v[26:27], v[38:39], v[28:29], -v[26:27]
	v_fma_f64 v[20:21], v[32:33], v[28:29], -v[20:21]
	v_fma_f64 v[22:23], v[34:35], v[28:29], -v[22:23]
	v_fma_f64 v[30:31], v[55:56], v[28:29], -v[30:31]
	v_add_f64 v[36:37], v[57:58], -v[24:25]
	v_add_f64 v[32:33], v[44:45], -v[26:27]
	;; [unrolled: 1-line block ×5, first 2 shown]
	v_fma_f64 v[51:52], v[57:58], 2.0, -v[36:37]
	v_fma_f64 v[38:39], v[44:45], 2.0, -v[32:33]
	;; [unrolled: 1-line block ×5, first 2 shown]
	ds_write2_b64 v60, v[51:52], v[36:37] offset1:8
	ds_write2_b64 v61, v[38:39], v[32:33] offset1:8
	;; [unrolled: 1-line block ×5, first 2 shown]
	s_waitcnt lgkmcnt(0)
	s_barrier
	buffer_gl0_inv
	s_and_saveexec_b32 s1, s0
	s_cbranch_execz .LBB0_15
; %bb.14:
	v_add_nc_u32_e32 v20, 0x400, v68
	v_add_nc_u32_e32 v21, 0x800, v68
	;; [unrolled: 1-line block ×4, first 2 shown]
	ds_read_b64 v[51:52], v69
	ds_read2_b64 v[36:39], v68 offset0:80 offset1:160
	ds_read2_b64 v[32:35], v20 offset0:112 offset1:192
	;; [unrolled: 1-line block ×5, first 2 shown]
.LBB0_15:
	s_or_b32 exec_lo, exec_lo, s1
	v_and_b32_e32 v71, 15, v50
	v_lshlrev_b32_e32 v70, 3, v70
	v_mul_u32_u24_e32 v40, 10, v71
	v_lshlrev_b32_e32 v59, 4, v40
	s_clause 0x9
	global_load_dwordx4 v[40:43], v59, s[8:9] offset:224
	global_load_dwordx4 v[44:47], v59, s[8:9] offset:240
	;; [unrolled: 1-line block ×10, first 2 shown]
	s_waitcnt vmcnt(0) lgkmcnt(0)
	s_barrier
	buffer_gl0_inv
	v_mul_f64 v[59:60], v[36:37], v[42:43]
	v_mul_f64 v[42:43], v[16:17], v[42:43]
	;; [unrolled: 1-line block ×20, first 2 shown]
	v_fma_f64 v[61:62], v[16:17], v[40:41], v[59:60]
	v_fma_f64 v[63:64], v[36:37], v[40:41], -v[42:43]
	v_fma_f64 v[57:58], v[18:19], v[44:45], v[65:66]
	v_fma_f64 v[59:60], v[38:39], v[44:45], -v[46:47]
	;; [unrolled: 2-line block ×10, first 2 shown]
	v_lshrrev_b32_e32 v72, 4, v50
	s_and_saveexec_b32 s1, s0
	s_cbranch_execz .LBB0_17
; %bb.16:
	v_add_f64 v[0:1], v[53:54], v[61:62]
	v_add_f64 v[2:3], v[63:64], -v[16:17]
	v_add_f64 v[8:9], v[32:33], -v[30:31]
	;; [unrolled: 1-line block ×4, first 2 shown]
	s_mov_b32 s16, 0xfd768dbf
	s_mov_b32 s20, 0xbb3a28a1
	;; [unrolled: 1-line block ×8, first 2 shown]
	v_add_f64 v[4:5], v[59:60], -v[18:19]
	v_add_f64 v[6:7], v[61:62], v[65:66]
	s_mov_b32 s19, 0xbfefac9e
	s_mov_b32 s23, 0x3fe14ced
	;; [unrolled: 1-line block ×7, first 2 shown]
	v_add_f64 v[0:1], v[0:1], v[57:58]
	v_mul_f64 v[75:76], v[2:3], s[16:17]
	v_mul_f64 v[79:80], v[2:3], s[20:21]
	;; [unrolled: 1-line block ×5, first 2 shown]
	s_mov_b32 s25, 0xbfed1bb4
	v_mul_f64 v[85:86], v[2:3], s[18:19]
	v_mul_f64 v[89:90], v[2:3], s[26:27]
	;; [unrolled: 1-line block ×3, first 2 shown]
	s_mov_b32 s11, 0xbfe4f49e
	s_mov_b32 s29, 0x3fefac9e
	;; [unrolled: 1-line block ×8, first 2 shown]
	v_add_f64 v[14:15], v[57:58], v[26:27]
	s_mov_b32 s7, 0x3feaeb8c
	s_mov_b32 s13, 0xbfc2375f
	;; [unrolled: 1-line block ×3, first 2 shown]
	v_add_f64 v[0:1], v[0:1], v[44:45]
	v_mul_f64 v[77:78], v[4:5], s[22:23]
	v_mul_f64 v[91:92], v[4:5], s[28:29]
	;; [unrolled: 1-line block ×5, first 2 shown]
	v_fma_f64 v[107:108], v[6:7], s[4:5], -v[75:76]
	v_fma_f64 v[75:76], v[6:7], s[4:5], v[75:76]
	v_fma_f64 v[111:112], v[6:7], s[10:11], -v[79:80]
	v_fma_f64 v[79:80], v[6:7], s[10:11], v[79:80]
	;; [unrolled: 2-line block ×4, first 2 shown]
	v_fma_f64 v[117:118], v[6:7], s[14:15], v[2:3]
	v_fma_f64 v[2:3], v[6:7], s[14:15], -v[2:3]
	v_add_f64 v[20:21], v[44:45], v[55:56]
	v_mul_f64 v[97:98], v[12:13], s[20:21]
	v_mul_f64 v[99:100], v[12:13], s[26:27]
	v_mul_f64 v[101:102], v[12:13], s[30:31]
	v_mul_f64 v[12:13], v[12:13], s[18:19]
	v_add_f64 v[22:23], v[40:41], v[42:43]
	v_add_f64 v[0:1], v[0:1], v[40:41]
	v_fma_f64 v[109:110], v[14:15], s[6:7], -v[77:78]
	v_fma_f64 v[77:78], v[14:15], s[6:7], v[77:78]
	v_fma_f64 v[6:7], v[14:15], s[12:13], -v[91:92]
	v_fma_f64 v[91:92], v[14:15], s[12:13], v[91:92]
	;; [unrolled: 2-line block ×3, first 2 shown]
	v_fma_f64 v[121:122], v[14:15], s[10:11], -v[95:96]
	v_add_f64 v[107:108], v[53:54], v[107:108]
	v_fma_f64 v[95:96], v[14:15], s[10:11], v[95:96]
	v_add_f64 v[75:76], v[53:54], v[75:76]
	v_fma_f64 v[127:128], v[14:15], s[14:15], -v[4:5]
	v_fma_f64 v[4:5], v[14:15], s[14:15], v[4:5]
	v_add_f64 v[14:15], v[53:54], v[79:80]
	v_add_f64 v[111:112], v[53:54], v[111:112]
	;; [unrolled: 1-line block ×8, first 2 shown]
	v_mul_f64 v[103:104], v[10:11], s[16:17]
	v_add_f64 v[0:1], v[0:1], v[36:37]
	v_mul_f64 v[105:106], v[10:11], s[26:27]
	v_fma_f64 v[123:124], v[20:21], s[10:11], -v[97:98]
	v_fma_f64 v[97:98], v[20:21], s[10:11], v[97:98]
	v_fma_f64 v[125:126], v[20:21], s[6:7], -v[99:100]
	v_fma_f64 v[99:100], v[20:21], s[6:7], v[99:100]
	;; [unrolled: 2-line block ×5, first 2 shown]
	v_mul_f64 v[20:21], v[10:11], s[20:21]
	v_mul_f64 v[10:11], v[10:11], s[28:29]
	v_add_f64 v[107:108], v[109:110], v[107:108]
	v_add_f64 v[75:76], v[77:78], v[75:76]
	;; [unrolled: 1-line block ×12, first 2 shown]
	v_mul_f64 v[109:110], v[8:9], s[18:19]
	v_mul_f64 v[77:78], v[8:9], s[20:21]
	;; [unrolled: 1-line block ×4, first 2 shown]
	v_fma_f64 v[91:92], v[22:23], s[14:15], -v[81:82]
	v_fma_f64 v[81:82], v[22:23], s[14:15], v[81:82]
	v_fma_f64 v[93:94], v[22:23], s[4:5], -v[103:104]
	v_fma_f64 v[95:96], v[22:23], s[4:5], v[103:104]
	;; [unrolled: 2-line block ×3, first 2 shown]
	v_fma_f64 v[113:114], v[22:23], s[10:11], v[20:21]
	v_fma_f64 v[119:120], v[22:23], s[12:13], -v[10:11]
	v_fma_f64 v[10:11], v[22:23], s[12:13], v[10:11]
	v_fma_f64 v[20:21], v[22:23], s[10:11], -v[20:21]
	v_add_f64 v[22:23], v[123:124], v[107:108]
	v_add_f64 v[75:76], v[97:98], v[75:76]
	;; [unrolled: 1-line block ×11, first 2 shown]
	v_fma_f64 v[87:88], v[73:74], s[12:13], -v[109:110]
	v_fma_f64 v[89:90], v[73:74], s[12:13], v[109:110]
	v_fma_f64 v[97:98], v[73:74], s[14:15], -v[83:84]
	v_fma_f64 v[83:84], v[73:74], s[14:15], v[83:84]
	v_fma_f64 v[99:100], v[73:74], s[10:11], -v[77:78]
	v_fma_f64 v[77:78], v[73:74], s[10:11], v[77:78]
	v_fma_f64 v[101:102], v[73:74], s[6:7], -v[111:112]
	v_fma_f64 v[107:108], v[73:74], s[6:7], v[111:112]
	v_fma_f64 v[109:110], v[73:74], s[4:5], -v[8:9]
	v_fma_f64 v[8:9], v[73:74], s[4:5], v[8:9]
	v_add_f64 v[22:23], v[91:92], v[22:23]
	v_add_f64 v[73:74], v[81:82], v[75:76]
	;; [unrolled: 1-line block ×11, first 2 shown]
	v_mul_u32_u24_e32 v81, 0xb0, v72
	v_add_f64 v[20:21], v[87:88], v[22:23]
	v_add_f64 v[22:23], v[89:90], v[73:74]
	;; [unrolled: 1-line block ×11, first 2 shown]
	v_or_b32_e32 v12, v81, v71
	v_lshlrev_b32_e32 v12, 3, v12
	v_add3_u32 v12, 0, v12, v70
	v_add_f64 v[0:1], v[0:1], v[65:66]
	ds_write2_b64 v12, v[14:15], v[22:23] offset0:64 offset1:80
	ds_write2_b64 v12, v[20:21], v[6:7] offset0:96 offset1:112
	;; [unrolled: 1-line block ×4, first 2 shown]
	ds_write2_b64 v12, v[0:1], v[4:5] offset1:16
	ds_write_b64 v12, v[10:11] offset:1280
.LBB0_17:
	s_or_b32 exec_lo, exec_lo, s1
	v_add_nc_u32_e32 v4, 0x800, v68
	v_add_nc_u32_e32 v5, 0xc00, v68
	;; [unrolled: 1-line block ×3, first 2 shown]
	s_waitcnt lgkmcnt(0)
	s_barrier
	buffer_gl0_inv
	ds_read2_b64 v[0:3], v68 offset0:88 offset1:176
	ds_read2_b64 v[8:11], v4 offset0:8 offset1:96
	;; [unrolled: 1-line block ×4, first 2 shown]
	ds_read_b64 v[20:21], v69
	ds_read_b64 v[22:23], v68 offset:6336
	s_waitcnt lgkmcnt(0)
	s_barrier
	buffer_gl0_inv
	s_and_saveexec_b32 s33, s0
	s_cbranch_execz .LBB0_19
; %bb.18:
	v_add_f64 v[53:54], v[51:52], v[63:64]
	v_add_f64 v[63:64], v[63:64], v[16:17]
	s_mov_b32 s24, 0x8764f0ba
	s_mov_b32 s22, 0xd9c712b6
	;; [unrolled: 1-line block ×10, first 2 shown]
	v_add_f64 v[61:62], v[61:62], -v[65:66]
	v_add_f64 v[26:27], v[57:58], -v[26:27]
	v_add_f64 v[36:37], v[36:37], -v[38:39]
	v_add_f64 v[44:45], v[44:45], -v[55:56]
	v_add_f64 v[55:56], v[34:35], v[28:29]
	s_mov_b32 s0, 0xf8bb580b
	s_mov_b32 s6, 0x8eee2c13
	;; [unrolled: 1-line block ×5, first 2 shown]
	v_add_f64 v[53:54], v[53:54], v[59:60]
	v_add_f64 v[59:60], v[59:60], v[18:19]
	v_mul_f64 v[38:39], v[63:64], s[24:25]
	v_mul_f64 v[57:58], v[63:64], s[22:23]
	;; [unrolled: 1-line block ×5, first 2 shown]
	s_mov_b32 s11, 0xbfed1bb4
	s_mov_b32 s13, 0x3fefac9e
	;; [unrolled: 1-line block ×15, first 2 shown]
	v_add_f64 v[53:54], v[53:54], v[46:47]
	v_add_f64 v[46:47], v[46:47], v[24:25]
	v_mul_f64 v[75:76], v[59:60], s[22:23]
	v_mul_f64 v[77:78], v[59:60], s[30:31]
	;; [unrolled: 1-line block ×5, first 2 shown]
	v_fma_f64 v[101:102], v[61:62], s[0:1], v[38:39]
	v_fma_f64 v[103:104], v[61:62], s[6:7], v[57:58]
	v_fma_f64 v[57:58], v[61:62], s[10:11], v[57:58]
	v_fma_f64 v[105:106], v[61:62], s[12:13], v[65:66]
	v_fma_f64 v[107:108], v[61:62], s[16:17], v[73:74]
	v_fma_f64 v[73:74], v[61:62], s[20:21], v[73:74]
	v_fma_f64 v[109:110], v[61:62], s[26:27], v[63:64]
	v_fma_f64 v[63:64], v[61:62], s[28:29], v[63:64]
	v_fma_f64 v[65:66], v[61:62], s[14:15], v[65:66]
	v_add_f64 v[40:41], v[40:41], -v[42:43]
	v_add_f64 v[42:43], v[32:33], v[30:31]
	v_mul_f64 v[89:90], v[55:56], s[30:31]
	v_mul_f64 v[91:92], v[55:56], s[18:19]
	;; [unrolled: 1-line block ×4, first 2 shown]
	v_add_f64 v[34:35], v[53:54], v[34:35]
	v_mul_f64 v[53:54], v[46:47], s[18:19]
	v_mul_f64 v[83:84], v[46:47], s[34:35]
	;; [unrolled: 1-line block ×5, first 2 shown]
	v_fma_f64 v[111:112], v[26:27], s[16:17], v[77:78]
	v_fma_f64 v[77:78], v[26:27], s[20:21], v[77:78]
	;; [unrolled: 1-line block ×7, first 2 shown]
	v_add_f64 v[57:58], v[51:52], v[57:58]
	v_add_f64 v[73:74], v[51:52], v[73:74]
	;; [unrolled: 1-line block ×4, first 2 shown]
	v_mul_f64 v[55:56], v[55:56], s[22:23]
	v_mul_f64 v[97:98], v[42:43], s[34:35]
	;; [unrolled: 1-line block ×3, first 2 shown]
	v_add_f64 v[32:33], v[34:35], v[32:33]
	v_fma_f64 v[34:35], v[61:62], s[4:5], v[38:39]
	v_fma_f64 v[61:62], v[26:27], s[6:7], v[75:76]
	;; [unrolled: 1-line block ×4, first 2 shown]
	v_add_f64 v[59:60], v[51:52], v[101:102]
	v_add_f64 v[101:102], v[51:52], v[103:104]
	;; [unrolled: 1-line block ×5, first 2 shown]
	v_fma_f64 v[109:110], v[44:45], s[28:29], v[83:84]
	v_fma_f64 v[83:84], v[44:45], s[26:27], v[83:84]
	;; [unrolled: 1-line block ×7, first 2 shown]
	v_add_f64 v[57:58], v[77:78], v[57:58]
	v_add_f64 v[73:74], v[81:82], v[73:74]
	v_mul_f64 v[38:39], v[42:43], s[30:31]
	v_add_f64 v[30:31], v[32:33], v[30:31]
	v_add_f64 v[32:33], v[51:52], v[34:35]
	v_fma_f64 v[51:52], v[44:45], s[12:13], v[53:54]
	v_fma_f64 v[53:54], v[44:45], s[14:15], v[53:54]
	v_fma_f64 v[44:45], v[44:45], s[20:21], v[46:47]
	v_add_f64 v[46:47], v[61:62], v[59:60]
	v_add_f64 v[59:60], v[111:112], v[101:102]
	;; [unrolled: 1-line block ×7, first 2 shown]
	v_mul_f64 v[34:35], v[42:43], s[22:23]
	v_fma_f64 v[65:66], v[40:41], s[20:21], v[89:90]
	v_fma_f64 v[79:80], v[40:41], s[12:13], v[91:92]
	;; [unrolled: 1-line block ×3, first 2 shown]
	v_add_f64 v[28:29], v[30:31], v[28:29]
	v_add_f64 v[30:31], v[75:76], v[32:33]
	v_mul_f64 v[32:33], v[42:43], s[18:19]
	v_fma_f64 v[42:43], v[40:41], s[16:17], v[89:90]
	v_fma_f64 v[75:76], v[40:41], s[14:15], v[91:92]
	;; [unrolled: 1-line block ×7, first 2 shown]
	v_add_f64 v[46:47], v[51:52], v[46:47]
	v_add_f64 v[51:52], v[109:110], v[59:60]
	;; [unrolled: 1-line block ×9, first 2 shown]
	v_fma_f64 v[63:64], v[36:37], s[4:5], v[99:100]
	v_fma_f64 v[77:78], v[36:37], s[0:1], v[99:100]
	;; [unrolled: 1-line block ×3, first 2 shown]
	v_add_f64 v[24:25], v[28:29], v[24:25]
	v_add_f64 v[28:29], v[53:54], v[30:31]
	v_fma_f64 v[30:31], v[36:37], s[26:27], v[97:98]
	v_fma_f64 v[53:54], v[36:37], s[28:29], v[97:98]
	;; [unrolled: 1-line block ×7, first 2 shown]
	v_add_f64 v[36:37], v[42:43], v[46:47]
	v_add_f64 v[42:43], v[75:76], v[51:52]
	;; [unrolled: 1-line block ×9, first 2 shown]
	v_mul_u32_u24_e32 v61, 0xb0, v72
	v_add_f64 v[18:19], v[24:25], v[18:19]
	v_add_f64 v[24:25], v[65:66], v[28:29]
	;; [unrolled: 1-line block ×13, first 2 shown]
	v_or_b32_e32 v24, v61, v71
	v_lshlrev_b32_e32 v24, 3, v24
	v_add3_u32 v24, 0, v24, v70
	ds_write2_b64 v24, v[30:31], v[42:43] offset0:32 offset1:48
	ds_write2_b64 v24, v[44:45], v[46:47] offset0:64 offset1:80
	;; [unrolled: 1-line block ×4, first 2 shown]
	ds_write2_b64 v24, v[16:17], v[28:29] offset1:16
	ds_write_b64 v24, v[18:19] offset:1280
.LBB0_19:
	s_or_b32 exec_lo, exec_lo, s33
	s_waitcnt lgkmcnt(0)
	s_barrier
	buffer_gl0_inv
	s_and_saveexec_b32 s0, vcc_lo
	s_cbranch_execz .LBB0_21
; %bb.20:
	v_lshlrev_b32_e32 v72, 2, v67
	v_mov_b32_e32 v73, 0
	v_add_nc_u32_e32 v60, 0xc00, v68
	v_add_nc_u32_e32 v64, 0x800, v68
	;; [unrolled: 1-line block ×3, first 2 shown]
	s_mov_b32 s6, 0x134454ff
	v_lshlrev_b64 v[16:17], 4, v[72:73]
	v_lshlrev_b32_e32 v72, 2, v50
	s_mov_b32 s7, 0x3fee6f0e
	s_mov_b32 s4, 0x4755a5e
	;; [unrolled: 1-line block ×4, first 2 shown]
	v_add_co_u32 v18, vcc_lo, s8, v16
	v_add_co_ci_u32_e32 v19, vcc_lo, s9, v17, vcc_lo
	v_lshlrev_b64 v[34:35], 4, v[72:73]
	v_add_co_u32 v16, vcc_lo, 0x800, v18
	v_add_co_ci_u32_e32 v17, vcc_lo, 0, v19, vcc_lo
	v_add_co_u32 v32, vcc_lo, 0xae0, v18
	v_add_co_ci_u32_e32 v33, vcc_lo, 0, v19, vcc_lo
	;; [unrolled: 2-line block ×3, first 2 shown]
	s_clause 0x2
	global_load_dwordx4 v[16:19], v[16:17], off offset:736
	global_load_dwordx4 v[24:27], v[32:33], off offset:32
	;; [unrolled: 1-line block ×3, first 2 shown]
	v_add_co_u32 v51, vcc_lo, 0xae0, v36
	v_add_co_ci_u32_e32 v52, vcc_lo, 0, v37, vcc_lo
	v_add_co_u32 v40, vcc_lo, 0x800, v36
	v_add_co_ci_u32_e32 v41, vcc_lo, 0, v37, vcc_lo
	s_clause 0x4
	global_load_dwordx4 v[32:35], v[32:33], off offset:48
	global_load_dwordx4 v[36:39], v[51:52], off offset:16
	;; [unrolled: 1-line block ×5, first 2 shown]
	ds_read2_b64 v[56:59], v68 offset0:88 offset1:176
	v_mul_hi_u32 v72, 0xba2e8ba3, v67
	ds_read_b64 v[74:75], v68 offset:6336
	ds_read_b64 v[76:77], v69
	ds_read2_b64 v[60:63], v60 offset0:56 offset1:144
	ds_read2_b64 v[64:67], v64 offset0:8 offset1:96
	;; [unrolled: 1-line block ×3, first 2 shown]
	v_mov_b32_e32 v51, v73
	v_add_co_u32 v48, vcc_lo, s2, v48
	v_add_co_ci_u32_e32 v49, vcc_lo, s3, v49, vcc_lo
	v_lshrrev_b32_e32 v72, 7, v72
	v_lshlrev_b64 v[50:51], 4, v[50:51]
	s_mov_b32 s9, 0xbfee6f0e
	s_mov_b32 s8, s6
	;; [unrolled: 1-line block ×3, first 2 shown]
	v_mul_u32_u24_e32 v72, 0x2c0, v72
	s_mov_b32 s0, 0x372fe950
	v_add_co_u32 v48, vcc_lo, v48, v50
	v_add_co_ci_u32_e32 v49, vcc_lo, v49, v51, vcc_lo
	v_lshlrev_b64 v[50:51], 4, v[72:73]
	v_add_co_u32 v84, vcc_lo, 0x800, v48
	v_add_co_ci_u32_e32 v85, vcc_lo, 0, v49, vcc_lo
	v_add_co_u32 v86, vcc_lo, 0x1000, v48
	v_add_co_ci_u32_e32 v87, vcc_lo, 0, v49, vcc_lo
	s_mov_b32 s1, 0x3fd3c6ef
	s_waitcnt vmcnt(7)
	v_mul_f64 v[78:79], v[8:9], v[18:19]
	s_waitcnt vmcnt(6)
	v_mul_f64 v[80:81], v[4:5], v[26:27]
	;; [unrolled: 2-line block ×3, first 2 shown]
	s_waitcnt lgkmcnt(0)
	v_mul_f64 v[26:27], v[68:69], v[26:27]
	v_mul_f64 v[18:19], v[64:65], v[18:19]
	;; [unrolled: 1-line block ×3, first 2 shown]
	s_waitcnt vmcnt(3)
	v_mul_f64 v[88:89], v[10:11], v[38:39]
	v_mul_f64 v[82:83], v[22:23], v[34:35]
	;; [unrolled: 1-line block ×3, first 2 shown]
	s_waitcnt vmcnt(2)
	v_mul_f64 v[90:91], v[2:3], v[42:43]
	s_waitcnt vmcnt(1)
	v_mul_f64 v[92:93], v[14:15], v[46:47]
	;; [unrolled: 2-line block ×3, first 2 shown]
	v_mul_f64 v[38:39], v[66:67], v[38:39]
	v_mul_f64 v[46:47], v[62:63], v[46:47]
	;; [unrolled: 1-line block ×4, first 2 shown]
	v_fma_f64 v[64:65], v[64:65], v[16:17], -v[78:79]
	v_fma_f64 v[68:69], v[68:69], v[24:25], -v[80:81]
	;; [unrolled: 1-line block ×3, first 2 shown]
	v_fma_f64 v[4:5], v[4:5], v[24:25], v[26:27]
	v_fma_f64 v[8:9], v[8:9], v[16:17], v[18:19]
	;; [unrolled: 1-line block ×3, first 2 shown]
	v_fma_f64 v[18:19], v[66:67], v[36:37], -v[88:89]
	v_fma_f64 v[72:73], v[74:75], v[32:33], -v[82:83]
	v_fma_f64 v[16:17], v[22:23], v[32:33], v[34:35]
	v_fma_f64 v[22:23], v[58:59], v[40:41], -v[90:91]
	v_fma_f64 v[24:25], v[62:63], v[44:45], -v[92:93]
	v_fma_f64 v[26:27], v[70:71], v[52:53], -v[94:95]
	v_fma_f64 v[10:11], v[10:11], v[36:37], v[38:39]
	v_fma_f64 v[14:15], v[14:15], v[44:45], v[46:47]
	;; [unrolled: 1-line block ×4, first 2 shown]
	v_add_co_u32 v74, vcc_lo, 0x2000, v48
	v_add_co_ci_u32_e32 v75, vcc_lo, 0, v49, vcc_lo
	v_add_f64 v[44:45], v[60:61], v[68:69]
	v_add_co_u32 v78, vcc_lo, 0x2800, v48
	v_add_f64 v[82:83], v[12:13], v[4:5]
	v_add_co_ci_u32_e32 v79, vcc_lo, 0, v49, vcc_lo
	v_add_co_u32 v40, vcc_lo, v48, v50
	v_add_co_ci_u32_e32 v41, vcc_lo, v49, v51, vcc_lo
	v_add_f64 v[34:35], v[64:65], v[72:73]
	v_add_f64 v[58:59], v[8:9], v[16:17]
	;; [unrolled: 1-line block ×4, first 2 shown]
	v_add_f64 v[6:7], v[60:61], -v[64:65]
	v_add_f64 v[88:89], v[10:11], v[14:15]
	v_add_f64 v[30:31], v[68:69], -v[72:73]
	v_add_f64 v[90:91], v[2:3], v[28:29]
	v_add_f64 v[36:37], v[8:9], -v[16:17]
	v_add_f64 v[38:39], v[64:65], -v[60:61]
	v_add_f64 v[46:47], v[64:65], v[56:57]
	v_add_f64 v[50:51], v[12:13], -v[8:9]
	v_add_f64 v[54:55], v[64:65], -v[72:73]
	;; [unrolled: 1-line block ×3, first 2 shown]
	v_add_f64 v[8:9], v[0:1], v[8:9]
	v_add_f64 v[104:105], v[22:23], v[76:77]
	;; [unrolled: 1-line block ×3, first 2 shown]
	v_add_f64 v[32:33], v[12:13], -v[4:5]
	v_add_f64 v[42:43], v[72:73], -v[68:69]
	;; [unrolled: 1-line block ×8, first 2 shown]
	v_fma_f64 v[34:35], v[34:35], -0.5, v[56:57]
	v_add_f64 v[22:23], v[22:23], -v[26:27]
	v_fma_f64 v[44:45], v[44:45], -0.5, v[56:57]
	v_fma_f64 v[66:67], v[66:67], -0.5, v[76:77]
	;; [unrolled: 1-line block ×4, first 2 shown]
	v_add_f64 v[62:63], v[60:61], -v[68:69]
	v_add_f64 v[94:95], v[24:25], -v[26:27]
	;; [unrolled: 1-line block ×3, first 2 shown]
	v_fma_f64 v[58:59], v[58:59], -0.5, v[0:1]
	v_fma_f64 v[20:21], v[90:91], -0.5, v[20:21]
	;; [unrolled: 1-line block ×3, first 2 shown]
	v_add_f64 v[106:107], v[10:11], -v[2:3]
	v_add_f64 v[2:3], v[2:3], -v[10:11]
	;; [unrolled: 1-line block ×3, first 2 shown]
	v_add_f64 v[30:31], v[6:7], v[30:31]
	v_add_f64 v[6:7], v[60:61], v[46:47]
	;; [unrolled: 1-line block ×5, first 2 shown]
	v_add_f64 v[102:103], v[26:27], -v[24:25]
	v_add_f64 v[38:39], v[38:39], v[42:43]
	v_add_f64 v[42:43], v[50:51], v[52:53]
	;; [unrolled: 1-line block ×3, first 2 shown]
	v_fma_f64 v[52:53], v[32:33], s[6:7], v[34:35]
	v_fma_f64 v[34:35], v[32:33], s[8:9], v[34:35]
	;; [unrolled: 1-line block ×9, first 2 shown]
	v_add_f64 v[108:109], v[14:15], -v[28:29]
	v_add_f64 v[12:13], v[92:93], v[94:95]
	v_fma_f64 v[64:65], v[62:63], s[8:9], v[58:59]
	v_fma_f64 v[92:93], v[56:57], s[6:7], v[20:21]
	;; [unrolled: 1-line block ×7, first 2 shown]
	v_add_f64 v[80:81], v[2:3], v[80:81]
	v_add_f64 v[2:3], v[68:69], v[6:7]
	;; [unrolled: 1-line block ×6, first 2 shown]
	v_fma_f64 v[10:11], v[36:37], s[4:5], v[52:53]
	v_fma_f64 v[14:15], v[36:37], s[10:11], v[34:35]
	;; [unrolled: 1-line block ×8, first 2 shown]
	v_add_f64 v[100:101], v[106:107], v[108:109]
	v_fma_f64 v[44:45], v[54:55], s[10:11], v[64:65]
	v_fma_f64 v[24:25], v[98:99], s[4:5], v[70:71]
	;; [unrolled: 1-line block ×8, first 2 shown]
	v_add_f64 v[2:3], v[72:73], v[2:3]
	v_add_f64 v[0:1], v[4:5], v[16:17]
	;; [unrolled: 1-line block ×4, first 2 shown]
	v_add_co_u32 v66, vcc_lo, 0x1000, v40
	v_fma_f64 v[10:11], v[30:31], s[0:1], v[10:11]
	v_fma_f64 v[14:15], v[30:31], s[0:1], v[14:15]
	;; [unrolled: 1-line block ×16, first 2 shown]
	v_add_co_ci_u32_e32 v67, vcc_lo, 0, v41, vcc_lo
	v_add_co_u32 v42, vcc_lo, 0x1800, v40
	v_add_co_ci_u32_e32 v43, vcc_lo, 0, v41, vcc_lo
	v_add_co_u32 v44, vcc_lo, 0x2000, v40
	;; [unrolled: 2-line block ×3, first 2 shown]
	v_add_co_ci_u32_e32 v47, vcc_lo, 0, v41, vcc_lo
	global_store_dwordx4 v[48:49], v[4:7], off
	global_store_dwordx4 v[84:85], v[32:35], off offset:768
	global_store_dwordx4 v[86:87], v[24:27], off offset:1536
	;; [unrolled: 1-line block ×9, first 2 shown]
.LBB0_21:
	s_endpgm
	.section	.rodata,"a",@progbits
	.p2align	6, 0x0
	.amdhsa_kernel fft_rtc_back_len880_factors_2_2_2_2_11_5_wgs_176_tpt_88_halfLds_dp_ip_CI_unitstride_sbrr_dirReg
		.amdhsa_group_segment_fixed_size 0
		.amdhsa_private_segment_fixed_size 0
		.amdhsa_kernarg_size 88
		.amdhsa_user_sgpr_count 6
		.amdhsa_user_sgpr_private_segment_buffer 1
		.amdhsa_user_sgpr_dispatch_ptr 0
		.amdhsa_user_sgpr_queue_ptr 0
		.amdhsa_user_sgpr_kernarg_segment_ptr 1
		.amdhsa_user_sgpr_dispatch_id 0
		.amdhsa_user_sgpr_flat_scratch_init 0
		.amdhsa_user_sgpr_private_segment_size 0
		.amdhsa_wavefront_size32 1
		.amdhsa_uses_dynamic_stack 0
		.amdhsa_system_sgpr_private_segment_wavefront_offset 0
		.amdhsa_system_sgpr_workgroup_id_x 1
		.amdhsa_system_sgpr_workgroup_id_y 0
		.amdhsa_system_sgpr_workgroup_id_z 0
		.amdhsa_system_sgpr_workgroup_info 0
		.amdhsa_system_vgpr_workitem_id 0
		.amdhsa_next_free_vgpr 131
		.amdhsa_next_free_sgpr 36
		.amdhsa_reserve_vcc 1
		.amdhsa_reserve_flat_scratch 0
		.amdhsa_float_round_mode_32 0
		.amdhsa_float_round_mode_16_64 0
		.amdhsa_float_denorm_mode_32 3
		.amdhsa_float_denorm_mode_16_64 3
		.amdhsa_dx10_clamp 1
		.amdhsa_ieee_mode 1
		.amdhsa_fp16_overflow 0
		.amdhsa_workgroup_processor_mode 1
		.amdhsa_memory_ordered 1
		.amdhsa_forward_progress 0
		.amdhsa_shared_vgpr_count 0
		.amdhsa_exception_fp_ieee_invalid_op 0
		.amdhsa_exception_fp_denorm_src 0
		.amdhsa_exception_fp_ieee_div_zero 0
		.amdhsa_exception_fp_ieee_overflow 0
		.amdhsa_exception_fp_ieee_underflow 0
		.amdhsa_exception_fp_ieee_inexact 0
		.amdhsa_exception_int_div_zero 0
	.end_amdhsa_kernel
	.text
.Lfunc_end0:
	.size	fft_rtc_back_len880_factors_2_2_2_2_11_5_wgs_176_tpt_88_halfLds_dp_ip_CI_unitstride_sbrr_dirReg, .Lfunc_end0-fft_rtc_back_len880_factors_2_2_2_2_11_5_wgs_176_tpt_88_halfLds_dp_ip_CI_unitstride_sbrr_dirReg
                                        ; -- End function
	.section	.AMDGPU.csdata,"",@progbits
; Kernel info:
; codeLenInByte = 9404
; NumSgprs: 38
; NumVgprs: 131
; ScratchSize: 0
; MemoryBound: 1
; FloatMode: 240
; IeeeMode: 1
; LDSByteSize: 0 bytes/workgroup (compile time only)
; SGPRBlocks: 4
; VGPRBlocks: 16
; NumSGPRsForWavesPerEU: 38
; NumVGPRsForWavesPerEU: 131
; Occupancy: 7
; WaveLimiterHint : 1
; COMPUTE_PGM_RSRC2:SCRATCH_EN: 0
; COMPUTE_PGM_RSRC2:USER_SGPR: 6
; COMPUTE_PGM_RSRC2:TRAP_HANDLER: 0
; COMPUTE_PGM_RSRC2:TGID_X_EN: 1
; COMPUTE_PGM_RSRC2:TGID_Y_EN: 0
; COMPUTE_PGM_RSRC2:TGID_Z_EN: 0
; COMPUTE_PGM_RSRC2:TIDIG_COMP_CNT: 0
	.text
	.p2alignl 6, 3214868480
	.fill 48, 4, 3214868480
	.type	__hip_cuid_8da9c6757162f58e,@object ; @__hip_cuid_8da9c6757162f58e
	.section	.bss,"aw",@nobits
	.globl	__hip_cuid_8da9c6757162f58e
__hip_cuid_8da9c6757162f58e:
	.byte	0                               ; 0x0
	.size	__hip_cuid_8da9c6757162f58e, 1

	.ident	"AMD clang version 19.0.0git (https://github.com/RadeonOpenCompute/llvm-project roc-6.4.0 25133 c7fe45cf4b819c5991fe208aaa96edf142730f1d)"
	.section	".note.GNU-stack","",@progbits
	.addrsig
	.addrsig_sym __hip_cuid_8da9c6757162f58e
	.amdgpu_metadata
---
amdhsa.kernels:
  - .args:
      - .actual_access:  read_only
        .address_space:  global
        .offset:         0
        .size:           8
        .value_kind:     global_buffer
      - .offset:         8
        .size:           8
        .value_kind:     by_value
      - .actual_access:  read_only
        .address_space:  global
        .offset:         16
        .size:           8
        .value_kind:     global_buffer
      - .actual_access:  read_only
        .address_space:  global
        .offset:         24
        .size:           8
        .value_kind:     global_buffer
      - .offset:         32
        .size:           8
        .value_kind:     by_value
      - .actual_access:  read_only
        .address_space:  global
        .offset:         40
        .size:           8
        .value_kind:     global_buffer
      - .actual_access:  read_only
        .address_space:  global
        .offset:         48
        .size:           8
        .value_kind:     global_buffer
      - .offset:         56
        .size:           4
        .value_kind:     by_value
      - .actual_access:  read_only
        .address_space:  global
        .offset:         64
        .size:           8
        .value_kind:     global_buffer
      - .actual_access:  read_only
        .address_space:  global
        .offset:         72
        .size:           8
        .value_kind:     global_buffer
      - .address_space:  global
        .offset:         80
        .size:           8
        .value_kind:     global_buffer
    .group_segment_fixed_size: 0
    .kernarg_segment_align: 8
    .kernarg_segment_size: 88
    .language:       OpenCL C
    .language_version:
      - 2
      - 0
    .max_flat_workgroup_size: 176
    .name:           fft_rtc_back_len880_factors_2_2_2_2_11_5_wgs_176_tpt_88_halfLds_dp_ip_CI_unitstride_sbrr_dirReg
    .private_segment_fixed_size: 0
    .sgpr_count:     38
    .sgpr_spill_count: 0
    .symbol:         fft_rtc_back_len880_factors_2_2_2_2_11_5_wgs_176_tpt_88_halfLds_dp_ip_CI_unitstride_sbrr_dirReg.kd
    .uniform_work_group_size: 1
    .uses_dynamic_stack: false
    .vgpr_count:     131
    .vgpr_spill_count: 0
    .wavefront_size: 32
    .workgroup_processor_mode: 1
amdhsa.target:   amdgcn-amd-amdhsa--gfx1030
amdhsa.version:
  - 1
  - 2
...

	.end_amdgpu_metadata
